;; amdgpu-corpus repo=ROCm/rocFFT kind=compiled arch=gfx950 opt=O3
	.text
	.amdgcn_target "amdgcn-amd-amdhsa--gfx950"
	.amdhsa_code_object_version 6
	.protected	fft_rtc_fwd_len224_factors_7_2_4_4_wgs_252_tpt_28_dim3_dp_op_CI_CI_sbcc_twdbase8_3step_dirReg ; -- Begin function fft_rtc_fwd_len224_factors_7_2_4_4_wgs_252_tpt_28_dim3_dp_op_CI_CI_sbcc_twdbase8_3step_dirReg
	.globl	fft_rtc_fwd_len224_factors_7_2_4_4_wgs_252_tpt_28_dim3_dp_op_CI_CI_sbcc_twdbase8_3step_dirReg
	.p2align	8
	.type	fft_rtc_fwd_len224_factors_7_2_4_4_wgs_252_tpt_28_dim3_dp_op_CI_CI_sbcc_twdbase8_3step_dirReg,@function
fft_rtc_fwd_len224_factors_7_2_4_4_wgs_252_tpt_28_dim3_dp_op_CI_CI_sbcc_twdbase8_3step_dirReg: ; @fft_rtc_fwd_len224_factors_7_2_4_4_wgs_252_tpt_28_dim3_dp_op_CI_CI_sbcc_twdbase8_3step_dirReg
; %bb.0:
	s_load_dwordx4 s[4:7], s[0:1], 0x10
	s_mov_b32 s3, 0
	s_mov_b64 s[34:35], 0
	s_waitcnt lgkmcnt(0)
	s_load_dwordx2 s[20:21], s[4:5], 0x8
	s_waitcnt lgkmcnt(0)
	s_add_u32 s8, s20, -1
	s_addc_u32 s9, s21, -1
	s_add_u32 s10, 0, 0x71c4fc00
	s_addc_u32 s11, 0, 0x7c
	s_mul_hi_u32 s13, s10, -9
	s_add_i32 s11, s11, 0x1c71c6a0
	s_sub_i32 s13, s13, s10
	s_mul_i32 s16, s11, -9
	s_mul_i32 s12, s10, -9
	s_add_i32 s13, s13, s16
	s_mul_hi_u32 s14, s11, s12
	s_mul_i32 s15, s11, s12
	s_mul_i32 s17, s10, s13
	s_mul_hi_u32 s12, s10, s12
	s_mul_hi_u32 s16, s10, s13
	s_add_u32 s12, s12, s17
	s_addc_u32 s16, 0, s16
	s_add_u32 s12, s12, s15
	s_mul_hi_u32 s17, s11, s13
	s_addc_u32 s12, s16, s14
	s_addc_u32 s14, s17, 0
	s_mul_i32 s13, s11, s13
	s_add_u32 s12, s12, s13
	v_mov_b32_e32 v1, s12
	s_addc_u32 s13, 0, s14
	v_add_co_u32_e32 v1, vcc, s10, v1
	s_cmp_lg_u64 vcc, 0
	s_addc_u32 s10, s11, s13
	v_readfirstlane_b32 s13, v1
	s_mul_i32 s12, s8, s10
	s_mul_hi_u32 s14, s8, s13
	s_mul_hi_u32 s11, s8, s10
	s_add_u32 s12, s14, s12
	s_addc_u32 s11, 0, s11
	s_mul_hi_u32 s15, s9, s13
	s_mul_i32 s13, s9, s13
	s_add_u32 s12, s12, s13
	s_mul_hi_u32 s14, s9, s10
	s_addc_u32 s11, s11, s15
	s_addc_u32 s12, s14, 0
	s_mul_i32 s10, s9, s10
	s_add_u32 s10, s11, s10
	s_addc_u32 s11, 0, s12
	s_add_u32 s12, s10, 1
	s_addc_u32 s13, s11, 0
	s_add_u32 s14, s10, 2
	s_mul_i32 s16, s11, 9
	s_mul_hi_u32 s17, s10, 9
	s_addc_u32 s15, s11, 0
	s_add_i32 s17, s17, s16
	s_mul_i32 s16, s10, 9
	v_mov_b32_e32 v1, s16
	v_sub_co_u32_e32 v1, vcc, s8, v1
	s_cmp_lg_u64 vcc, 0
	s_subb_u32 s8, s9, s17
	v_subrev_co_u32_e32 v2, vcc, 9, v1
	s_cmp_lg_u64 vcc, 0
	s_subb_u32 s9, s8, 0
	v_readfirstlane_b32 s16, v2
	s_cmp_gt_u32 s16, 8
	s_cselect_b32 s16, -1, 0
	s_cmp_eq_u32 s9, 0
	s_cselect_b32 s9, s16, -1
	s_cmp_lg_u32 s9, 0
	s_cselect_b32 s9, s14, s12
	s_cselect_b32 s12, s15, s13
	v_readfirstlane_b32 s13, v1
	s_cmp_gt_u32 s13, 8
	s_cselect_b32 s13, -1, 0
	s_cmp_eq_u32 s8, 0
	s_cselect_b32 s8, s13, -1
	s_cmp_lg_u32 s8, 0
	s_cselect_b32 s9, s9, s10
	s_cselect_b32 s8, s12, s11
	s_add_u32 s30, s9, 1
	s_addc_u32 s31, s8, 0
	v_mov_b64_e32 v[2:3], s[30:31]
	v_cmp_lt_u64_e32 vcc, s[2:3], v[2:3]
	s_cbranch_vccnz .LBB0_2
; %bb.1:
	v_cvt_f32_u32_e32 v1, s30
	s_sub_i32 s8, 0, s30
	s_mov_b32 s35, s3
	v_rcp_iflag_f32_e32 v1, v1
	s_nop 0
	v_mul_f32_e32 v1, 0x4f7ffffe, v1
	v_cvt_u32_f32_e32 v1, v1
	s_nop 0
	v_readfirstlane_b32 s9, v1
	s_mul_i32 s8, s8, s9
	s_mul_hi_u32 s8, s9, s8
	s_add_i32 s9, s9, s8
	s_mul_hi_u32 s8, s2, s9
	s_mul_i32 s10, s8, s30
	s_sub_i32 s10, s2, s10
	s_add_i32 s9, s8, 1
	s_sub_i32 s11, s10, s30
	s_cmp_ge_u32 s10, s30
	s_cselect_b32 s8, s9, s8
	s_cselect_b32 s10, s11, s10
	s_add_i32 s9, s8, 1
	s_cmp_ge_u32 s10, s30
	s_cselect_b32 s34, s9, s8
.LBB0_2:
	s_load_dwordx2 s[10:11], s[4:5], 0x10
	s_load_dwordx2 s[8:9], s[0:1], 0x20
	s_load_dwordx2 s[26:27], s[6:7], 0x8
	s_mov_b64 s[16:17], s[34:35]
	s_waitcnt lgkmcnt(0)
	v_mov_b64_e32 v[2:3], s[10:11]
	v_cmp_lt_u64_e32 vcc, s[34:35], v[2:3]
	s_cbranch_vccnz .LBB0_4
; %bb.3:
	v_cvt_f32_u32_e32 v1, s10
	s_sub_i32 s4, 0, s10
	v_rcp_iflag_f32_e32 v1, v1
	s_nop 0
	v_mul_f32_e32 v1, 0x4f7ffffe, v1
	v_cvt_u32_f32_e32 v1, v1
	s_nop 0
	v_readfirstlane_b32 s5, v1
	s_mul_i32 s4, s4, s5
	s_mul_hi_u32 s4, s5, s4
	s_add_i32 s5, s5, s4
	s_mul_hi_u32 s4, s34, s5
	s_mul_i32 s4, s4, s10
	s_sub_i32 s4, s34, s4
	s_sub_i32 s5, s4, s10
	s_cmp_ge_u32 s4, s10
	s_cselect_b32 s4, s5, s4
	s_sub_i32 s5, s4, s10
	s_cmp_ge_u32 s4, s10
	s_cselect_b32 s16, s5, s4
.LBB0_4:
	s_mul_i32 s4, s10, s31
	s_mul_hi_u32 s5, s10, s30
	s_add_i32 s4, s5, s4
	s_mul_i32 s5, s11, s30
	s_load_dwordx2 s[28:29], s[0:1], 0x58
	s_add_i32 s11, s4, s5
	s_load_dwordx2 s[22:23], s[6:7], 0x0
	s_load_dwordx2 s[4:5], s[6:7], 0x10
	s_mul_i32 s10, s10, s30
	v_mov_b64_e32 v[2:3], s[10:11]
	v_cmp_lt_u64_e32 vcc, s[2:3], v[2:3]
	s_mov_b64 s[24:25], 0
	s_mov_b64 s[18:19], 0
	s_cbranch_vccnz .LBB0_6
; %bb.5:
	v_cvt_f32_u32_e32 v1, s10
	s_sub_i32 s3, 0, s10
	v_rcp_iflag_f32_e32 v1, v1
	s_nop 0
	v_mul_f32_e32 v1, 0x4f7ffffe, v1
	v_cvt_u32_f32_e32 v1, v1
	s_nop 0
	v_readfirstlane_b32 s11, v1
	s_mul_i32 s3, s3, s11
	s_mul_hi_u32 s3, s11, s3
	s_add_i32 s11, s11, s3
	s_mul_hi_u32 s3, s2, s11
	s_mul_i32 s12, s3, s10
	s_sub_i32 s12, s2, s12
	s_add_i32 s11, s3, 1
	s_sub_i32 s13, s12, s10
	s_cmp_ge_u32 s12, s10
	s_cselect_b32 s3, s11, s3
	s_cselect_b32 s12, s13, s12
	s_add_i32 s11, s3, 1
	s_cmp_ge_u32 s12, s10
	s_cselect_b32 s18, s11, s3
.LBB0_6:
	s_mul_i32 s3, s34, s31
	s_mul_hi_u32 s17, s34, s30
	s_add_i32 s17, s17, s3
	s_mul_i32 s3, s34, s30
	s_sub_u32 s30, s2, s3
	s_subb_u32 s2, 0, s17
	s_mul_i32 s31, s2, 9
	s_mul_hi_u32 s2, s30, 9
	s_add_i32 s19, s2, s31
	s_mul_i32 s17, s30, 9
	s_mul_i32 s2, s26, s19
	s_mul_hi_u32 s3, s26, s17
	s_add_i32 s2, s3, s2
	s_mul_i32 s3, s27, s17
	s_add_i32 s33, s2, s3
	s_load_dwordx2 s[2:3], s[6:7], 0x18
	s_waitcnt lgkmcnt(0)
	s_mul_i32 s5, s5, s16
	s_mul_hi_u32 s35, s4, s16
	s_mul_i32 s34, s26, s17
	s_add_i32 s35, s35, s5
	s_mul_i32 s4, s4, s16
	s_add_u32 s4, s4, s34
	s_mul_i32 s3, s3, s18
	s_mul_hi_u32 s6, s2, s18
	s_addc_u32 s5, s35, s33
	s_add_i32 s3, s6, s3
	s_mul_i32 s2, s2, s18
	v_mul_u32_u24_e32 v1, 0x1c72, v0
	s_add_u32 s6, s2, s4
	v_lshrrev_b32_e32 v62, 16, v1
	s_load_dwordx8 s[8:15], s[8:9], 0x0
	s_addc_u32 s7, s3, s5
	v_mul_lo_u16_e32 v1, 9, v62
	v_sub_u16_e32 v58, v0, v1
	v_mov_b32_e32 v59, 0
	s_add_u32 s4, s17, 9
	v_mad_u64_u32 v[60:61], s[2:3], s30, 9, v[58:59]
	s_addc_u32 s5, s19, 0
	v_mov_b64_e32 v[2:3], s[20:21]
	v_add_u32_e32 v61, s31, v61
	v_cmp_gt_u64_e32 vcc, s[4:5], v[2:3]
	v_cmp_le_u64_e64 s[2:3], s[4:5], v[2:3]
	v_cmp_gt_u64_e64 s[4:5], s[20:21], v[60:61]
	s_cbranch_vccz .LBB0_10
; %bb.7:
	s_mov_b64 s[30:31], 0
                                        ; implicit-def: $vgpr54_vgpr55
                                        ; implicit-def: $vgpr2_vgpr3
                                        ; implicit-def: $vgpr10_vgpr11
                                        ; implicit-def: $vgpr18_vgpr19
                                        ; implicit-def: $vgpr42_vgpr43
                                        ; implicit-def: $vgpr22_vgpr23
                                        ; implicit-def: $vgpr14_vgpr15
                                        ; implicit-def: $vgpr6_vgpr7
	s_and_saveexec_b64 s[34:35], s[4:5]
	s_xor_b64 s[4:5], exec, s[34:35]
	s_cbranch_execz .LBB0_9
; %bb.8:
	v_mad_u64_u32 v[2:3], s[24:25], s26, v58, 0
	v_mov_b32_e32 v4, v3
	v_mad_u64_u32 v[4:5], s[24:25], s27, v58, v[4:5]
	v_mov_b32_e32 v3, v4
	;; [unrolled: 2-line block ×3, first 2 shown]
	v_mad_u64_u32 v[6:7], s[24:25], s23, v62, v[6:7]
	s_lshl_b64 s[24:25], s[6:7], 4
	s_add_u32 s24, s28, s24
	s_addc_u32 s25, s29, s25
	v_or_b32_e32 v1, 32, v62
	v_mov_b32_e32 v5, v6
	v_lshl_add_u64 v[54:55], v[2:3], 4, s[24:25]
	v_mad_u64_u32 v[2:3], s[24:25], s22, v1, 0
	v_lshl_add_u64 v[10:11], v[4:5], 4, v[54:55]
	v_mov_b32_e32 v4, v3
	v_mad_u64_u32 v[4:5], s[24:25], s23, v1, v[4:5]
	v_mov_b32_e32 v3, v4
	v_or_b32_e32 v1, 64, v62
	v_lshl_add_u64 v[12:13], v[2:3], 4, v[54:55]
	global_load_dwordx4 v[2:5], v[10:11], off
	global_load_dwordx4 v[6:9], v[12:13], off
	v_mad_u64_u32 v[10:11], s[24:25], s22, v1, 0
	v_mov_b32_e32 v12, v11
	v_mad_u64_u32 v[12:13], s[24:25], s23, v1, v[12:13]
	v_mov_b32_e32 v11, v12
	v_or_b32_e32 v1, 0x60, v62
	v_lshl_add_u64 v[18:19], v[10:11], 4, v[54:55]
	v_mad_u64_u32 v[10:11], s[24:25], s22, v1, 0
	v_mov_b32_e32 v12, v11
	v_mad_u64_u32 v[12:13], s[24:25], s23, v1, v[12:13]
	v_mov_b32_e32 v11, v12
	v_or_b32_e32 v1, 0x80, v62
	v_lshl_add_u64 v[20:21], v[10:11], 4, v[54:55]
	global_load_dwordx4 v[14:17], v[18:19], off
	global_load_dwordx4 v[10:13], v[20:21], off
	v_mad_u64_u32 v[18:19], s[24:25], s22, v1, 0
	v_mov_b32_e32 v20, v19
	v_mad_u64_u32 v[20:21], s[24:25], s23, v1, v[20:21]
	v_mov_b32_e32 v19, v20
	v_or_b32_e32 v1, 0xa0, v62
	v_lshl_add_u64 v[26:27], v[18:19], 4, v[54:55]
	v_mad_u64_u32 v[18:19], s[24:25], s22, v1, 0
	v_mov_b32_e32 v20, v19
	v_mad_u64_u32 v[20:21], s[24:25], s23, v1, v[20:21]
	v_mov_b32_e32 v19, v20
	v_or_b32_e32 v1, 0xc0, v62
	v_lshl_add_u64 v[28:29], v[18:19], 4, v[54:55]
	global_load_dwordx4 v[18:21], v[26:27], off
	global_load_dwordx4 v[22:25], v[28:29], off
	v_mad_u64_u32 v[26:27], s[24:25], s22, v1, 0
	v_mov_b32_e32 v28, v27
	v_mad_u64_u32 v[28:29], s[24:25], s23, v1, v[28:29]
	v_mov_b32_e32 v27, v28
	v_lshl_add_u64 v[26:27], v[26:27], 4, v[54:55]
	global_load_dwordx4 v[42:45], v[26:27], off
	v_cmp_gt_u32_e32 vcc, 36, v0
	s_and_b64 s[24:25], vcc, exec
.LBB0_9:
	s_or_b64 exec, exec, s[4:5]
	s_and_b64 vcc, exec, s[30:31]
	v_cmp_gt_u32_e64 s[4:5], 36, v0
	s_cbranch_vccnz .LBB0_11
	s_branch .LBB0_12
.LBB0_10:
                                        ; implicit-def: $vgpr54_vgpr55
                                        ; implicit-def: $vgpr2_vgpr3
                                        ; implicit-def: $vgpr10_vgpr11
                                        ; implicit-def: $vgpr18_vgpr19
                                        ; implicit-def: $vgpr42_vgpr43
                                        ; implicit-def: $vgpr22_vgpr23
                                        ; implicit-def: $vgpr14_vgpr15
                                        ; implicit-def: $vgpr6_vgpr7
	v_cmp_gt_u32_e64 s[4:5], 36, v0
	s_cbranch_execz .LBB0_12
.LBB0_11:
	s_waitcnt vmcnt(6)
	v_mad_u64_u32 v[2:3], s[30:31], s26, v58, 0
	v_mov_b32_e32 v4, v3
	v_mad_u64_u32 v[4:5], s[26:27], s27, v58, v[4:5]
	v_mov_b32_e32 v3, v4
	v_mad_u64_u32 v[4:5], s[26:27], s22, v62, 0
	s_lshl_b64 s[6:7], s[6:7], 4
	s_waitcnt vmcnt(5)
	v_mov_b32_e32 v6, v5
	s_add_u32 s6, s28, s6
	v_mad_u64_u32 v[6:7], s[26:27], s23, v62, v[6:7]
	s_addc_u32 s7, s29, s7
	v_or_b32_e32 v1, 32, v62
	v_mov_b32_e32 v5, v6
	v_lshl_add_u64 v[54:55], v[2:3], 4, s[6:7]
	v_mad_u64_u32 v[2:3], s[6:7], s22, v1, 0
	s_waitcnt vmcnt(3)
	v_lshl_add_u64 v[10:11], v[4:5], 4, v[54:55]
	v_mov_b32_e32 v4, v3
	v_mad_u64_u32 v[4:5], s[6:7], s23, v1, v[4:5]
	v_mov_b32_e32 v3, v4
	v_or_b32_e32 v1, 64, v62
	v_lshl_add_u64 v[12:13], v[2:3], 4, v[54:55]
	global_load_dwordx4 v[2:5], v[10:11], off
	global_load_dwordx4 v[6:9], v[12:13], off
	v_mad_u64_u32 v[10:11], s[6:7], s22, v1, 0
	v_mov_b32_e32 v12, v11
	v_mad_u64_u32 v[12:13], s[6:7], s23, v1, v[12:13]
	v_mov_b32_e32 v11, v12
	v_or_b32_e32 v1, 0x60, v62
	s_waitcnt vmcnt(4)
	v_lshl_add_u64 v[18:19], v[10:11], 4, v[54:55]
	v_mad_u64_u32 v[10:11], s[6:7], s22, v1, 0
	v_mov_b32_e32 v12, v11
	v_mad_u64_u32 v[12:13], s[6:7], s23, v1, v[12:13]
	v_mov_b32_e32 v11, v12
	v_or_b32_e32 v1, 0x80, v62
	v_lshl_add_u64 v[20:21], v[10:11], 4, v[54:55]
	global_load_dwordx4 v[14:17], v[18:19], off
	global_load_dwordx4 v[10:13], v[20:21], off
	v_mad_u64_u32 v[18:19], s[6:7], s22, v1, 0
	v_mov_b32_e32 v20, v19
	v_mad_u64_u32 v[20:21], s[6:7], s23, v1, v[20:21]
	v_mov_b32_e32 v19, v20
	v_or_b32_e32 v1, 0xa0, v62
	v_lshl_add_u64 v[26:27], v[18:19], 4, v[54:55]
	v_mad_u64_u32 v[18:19], s[6:7], s22, v1, 0
	v_mov_b32_e32 v20, v19
	v_mad_u64_u32 v[20:21], s[6:7], s23, v1, v[20:21]
	v_mov_b32_e32 v19, v20
	v_or_b32_e32 v1, 0xc0, v62
	v_lshl_add_u64 v[28:29], v[18:19], 4, v[54:55]
	global_load_dwordx4 v[18:21], v[26:27], off
	global_load_dwordx4 v[22:25], v[28:29], off
	v_mad_u64_u32 v[26:27], s[6:7], s22, v1, 0
	v_mov_b32_e32 v28, v27
	v_mad_u64_u32 v[28:29], s[6:7], s23, v1, v[28:29]
	v_mov_b32_e32 v27, v28
	v_lshl_add_u64 v[26:27], v[26:27], 4, v[54:55]
	global_load_dwordx4 v[42:45], v[26:27], off
	s_andn2_b64 s[6:7], s[24:25], exec
	s_and_b64 s[4:5], s[4:5], exec
	s_or_b64 s[24:25], s[6:7], s[4:5]
.LBB0_12:
	s_load_dwordx2 s[4:5], s[0:1], 0x0
	v_add_u32_e32 v1, 28, v62
                                        ; implicit-def: $vgpr56_vgpr57
                                        ; implicit-def: $vgpr48_vgpr49
                                        ; implicit-def: $vgpr52_vgpr53
                                        ; implicit-def: $vgpr40_vgpr41
                                        ; implicit-def: $vgpr36_vgpr37
                                        ; implicit-def: $vgpr28_vgpr29
                                        ; implicit-def: $vgpr32_vgpr33
	s_and_saveexec_b64 s[6:7], s[24:25]
	s_cbranch_execz .LBB0_14
; %bb.13:
	v_mad_u64_u32 v[26:27], s[24:25], s22, v1, 0
	v_mov_b32_e32 v28, v27
	v_mad_u64_u32 v[28:29], s[24:25], s23, v1, v[28:29]
	v_mov_b32_e32 v27, v28
	v_add_u32_e32 v29, 60, v62
	v_lshl_add_u64 v[34:35], v[26:27], 4, v[54:55]
	v_mad_u64_u32 v[26:27], s[24:25], s22, v29, 0
	v_mov_b32_e32 v28, v27
	v_mad_u64_u32 v[28:29], s[24:25], s23, v29, v[28:29]
	v_mov_b32_e32 v27, v28
	v_lshl_add_u64 v[36:37], v[26:27], 4, v[54:55]
	global_load_dwordx4 v[30:33], v[34:35], off
	global_load_dwordx4 v[26:29], v[36:37], off
	v_add_u32_e32 v37, 0x5c, v62
	v_mad_u64_u32 v[34:35], s[24:25], s22, v37, 0
	v_mov_b32_e32 v36, v35
	v_mad_u64_u32 v[36:37], s[24:25], s23, v37, v[36:37]
	v_mov_b32_e32 v35, v36
	v_add_u32_e32 v37, 0x7c, v62
	v_lshl_add_u64 v[46:47], v[34:35], 4, v[54:55]
	v_mad_u64_u32 v[34:35], s[24:25], s22, v37, 0
	v_mov_b32_e32 v36, v35
	v_mad_u64_u32 v[36:37], s[24:25], s23, v37, v[36:37]
	v_mov_b32_e32 v35, v36
	v_lshl_add_u64 v[48:49], v[34:35], 4, v[54:55]
	global_load_dwordx4 v[34:37], v[46:47], off
	global_load_dwordx4 v[38:41], v[48:49], off
	v_add_u32_e32 v49, 0x9c, v62
	v_mad_u64_u32 v[46:47], s[24:25], s22, v49, 0
	v_mov_b32_e32 v48, v47
	v_mad_u64_u32 v[48:49], s[24:25], s23, v49, v[48:49]
	v_mov_b32_e32 v47, v48
	v_add_u32_e32 v49, 0xbc, v62
	v_lshl_add_u64 v[56:57], v[46:47], 4, v[54:55]
	v_mad_u64_u32 v[46:47], s[24:25], s22, v49, 0
	v_mov_b32_e32 v48, v47
	v_mad_u64_u32 v[48:49], s[24:25], s23, v49, v[48:49]
	v_mov_b32_e32 v47, v48
	v_add_u32_e32 v59, 0xdc, v62
	v_lshl_add_u64 v[64:65], v[46:47], 4, v[54:55]
	global_load_dwordx4 v[50:53], v[56:57], off
	global_load_dwordx4 v[46:49], v[64:65], off
	v_mad_u64_u32 v[56:57], s[24:25], s22, v59, 0
	v_mov_b32_e32 v64, v57
	v_mad_u64_u32 v[64:65], s[22:23], s23, v59, v[64:65]
	v_mov_b32_e32 v57, v64
	v_lshl_add_u64 v[54:55], v[56:57], 4, v[54:55]
	global_load_dwordx4 v[54:57], v[54:55], off
.LBB0_14:
	s_or_b64 exec, exec, s[6:7]
	s_waitcnt vmcnt(0)
	v_add_f64 v[64:65], v[6:7], v[42:43]
	v_add_f64 v[6:7], v[6:7], -v[42:43]
	v_add_f64 v[42:43], v[14:15], v[22:23]
	v_add_f64 v[66:67], v[8:9], v[44:45]
	v_add_f64 v[8:9], v[8:9], -v[44:45]
	v_add_f64 v[44:45], v[16:17], v[24:25]
	v_add_f64 v[14:15], v[14:15], -v[22:23]
	;; [unrolled: 2-line block ×5, first 2 shown]
	v_add_f64 v[20:21], v[44:45], v[66:67]
	v_add_f64 v[72:73], v[14:15], v[10:11]
	;; [unrolled: 1-line block ×3, first 2 shown]
	v_add_f64 v[68:69], v[42:43], -v[64:65]
	v_add_f64 v[64:65], v[64:65], -v[22:23]
	;; [unrolled: 1-line block ×3, first 2 shown]
	v_add_f64 v[74:75], v[16:17], v[12:13]
	v_add_f64 v[76:77], v[10:11], -v[14:15]
	v_add_f64 v[10:11], v[6:7], -v[10:11]
	v_add_f64 v[14:15], v[14:15], -v[6:7]
	v_add_f64 v[20:21], v[20:21], v[24:25]
	v_add_f64 v[22:23], v[6:7], v[72:73]
	v_add_f64 v[6:7], v[2:3], v[18:19]
	s_mov_b32 s24, 0x37e14327
	s_mov_b32 s26, 0x36b3c0b5
	;; [unrolled: 1-line block ×5, first 2 shown]
	v_add_f64 v[70:71], v[44:45], -v[66:67]
	v_add_f64 v[66:67], v[66:67], -v[24:25]
	;; [unrolled: 1-line block ×6, first 2 shown]
	v_add_f64 v[24:25], v[8:9], v[74:75]
	v_add_f64 v[8:9], v[4:5], v[20:21]
	s_mov_b32 s25, 0x3fe948f6
	s_mov_b32 s27, 0x3fac98ee
	;; [unrolled: 1-line block ×5, first 2 shown]
	v_mov_b64_e32 v[80:81], v[6:7]
	s_mov_b32 s22, 0x5476071b
	s_mov_b32 s40, 0xb247c609
	v_mul_f64 v[2:3], v[64:65], s[24:25]
	v_mul_f64 v[4:5], v[66:67], s[24:25]
	;; [unrolled: 1-line block ×8, first 2 shown]
	v_fmac_f64_e32 v[80:81], s[38:39], v[18:19]
	v_mov_b64_e32 v[18:19], v[8:9]
	s_mov_b32 s23, 0x3fe77f67
	s_mov_b32 s31, 0xbfe77f67
	;; [unrolled: 1-line block ×7, first 2 shown]
	v_fmac_f64_e32 v[18:19], s[38:39], v[20:21]
	v_fma_f64 v[20:21], v[68:69], s[22:23], -v[42:43]
	v_fmac_f64_e32 v[42:43], s[24:25], v[64:65]
	v_fma_f64 v[64:65], v[70:71], s[22:23], -v[44:45]
	v_fma_f64 v[2:3], v[68:69], s[30:31], -v[2:3]
	;; [unrolled: 1-line block ×6, first 2 shown]
	s_mov_b32 s35, 0x3fdc38aa
	v_fmac_f64_e32 v[44:45], s[24:25], v[66:67]
	v_fma_f64 v[66:67], v[14:15], s[6:7], -v[72:73]
	v_fmac_f64_e32 v[72:73], s[40:41], v[10:11]
	v_add_f64 v[78:79], v[80:81], v[42:43]
	v_add_f64 v[42:43], v[80:81], v[20:21]
	;; [unrolled: 1-line block ×3, first 2 shown]
	v_fmac_f64_e32 v[68:69], s[34:35], v[24:25]
	v_fmac_f64_e32 v[76:77], s[34:35], v[24:25]
	s_movk_i32 s33, 0x3f0
	v_fmac_f64_e32 v[74:75], s[40:41], v[12:13]
	v_add_f64 v[82:83], v[18:19], v[44:45]
	v_add_f64 v[44:45], v[18:19], v[64:65]
	;; [unrolled: 1-line block ×3, first 2 shown]
	v_fmac_f64_e32 v[72:73], s[34:35], v[22:23]
	v_fmac_f64_e32 v[66:67], s[34:35], v[22:23]
	v_fmac_f64_e32 v[70:71], s[34:35], v[22:23]
	v_add_f64 v[14:15], v[76:77], v[2:3]
	v_add_f64 v[18:19], v[42:43], -v[68:69]
	v_add_f64 v[22:23], v[68:69], v[42:43]
	v_add_f64 v[42:43], v[2:3], -v[76:77]
	v_mad_u32_u24 v3, v62, s33, 0
	v_fmac_f64_e32 v[74:75], s[34:35], v[24:25]
	v_lshl_add_u32 v2, v58, 4, v3
	v_cmp_gt_u32_e32 vcc, 36, v0
	v_add_f64 v[10:11], v[74:75], v[78:79]
	v_add_f64 v[12:13], v[82:83], -v[72:73]
	v_add_f64 v[16:17], v[4:5], -v[70:71]
	v_add_f64 v[20:21], v[44:45], v[66:67]
	v_add_f64 v[24:25], v[44:45], -v[66:67]
	v_add_f64 v[44:45], v[4:5], v[70:71]
	;; [unrolled: 2-line block ×3, first 2 shown]
	ds_write_b128 v2, v[6:9]
	ds_write_b128 v2, v[10:13] offset:144
	ds_write_b128 v2, v[14:17] offset:288
	;; [unrolled: 1-line block ×6, first 2 shown]
	s_and_saveexec_b64 s[42:43], vcc
	s_cbranch_execz .LBB0_16
; %bb.15:
	v_add_f64 v[12:13], v[26:27], -v[54:55]
	v_add_f64 v[4:5], v[50:51], -v[38:39]
	v_add_f64 v[16:17], v[34:35], -v[46:47]
	v_add_f64 v[14:15], v[12:13], -v[4:5]
	v_add_f64 v[6:7], v[4:5], -v[16:17]
	v_add_f64 v[4:5], v[4:5], v[16:17]
	v_add_f64 v[22:23], v[56:57], v[28:29]
	;; [unrolled: 1-line block ×7, first 2 shown]
	v_mul_f64 v[18:19], v[6:7], s[28:29]
	v_add_f64 v[6:7], v[32:33], v[4:5]
	v_mov_b64_e32 v[32:33], v[6:7]
	v_fmac_f64_e32 v[32:33], s[38:39], v[4:5]
	v_add_f64 v[4:5], v[22:23], -v[8:9]
	v_mul_f64 v[44:45], v[4:5], s[24:25]
	v_add_f64 v[4:5], v[8:9], -v[24:25]
	v_mul_f64 v[64:65], v[4:5], s[26:27]
	v_fma_f64 v[4:5], s[26:27], v[4:5], v[44:45]
	v_add_f64 v[26:27], v[54:55], v[26:27]
	v_add_f64 v[34:35], v[46:47], v[34:35]
	;; [unrolled: 1-line block ×7, first 2 shown]
	v_mov_b64_e32 v[30:31], v[4:5]
	v_fmac_f64_e32 v[30:31], s[38:39], v[38:39]
	v_add_f64 v[38:39], v[26:27], -v[8:9]
	v_mul_f64 v[38:39], v[38:39], s[24:25]
	v_add_f64 v[8:9], v[8:9], -v[34:35]
	v_mul_f64 v[46:47], v[8:9], s[26:27]
	v_fma_f64 v[8:9], s[26:27], v[8:9], v[38:39]
	v_add_f64 v[16:17], v[16:17], -v[12:13]
	v_add_f64 v[50:51], v[8:9], v[30:31]
	v_add_f64 v[28:29], v[28:29], -v[56:57]
	v_add_f64 v[8:9], v[52:53], -v[40:41]
	;; [unrolled: 1-line block ×3, first 2 shown]
	v_mul_f64 v[12:13], v[16:17], s[6:7]
	v_add_f64 v[22:23], v[24:25], -v[22:23]
	v_add_f64 v[40:41], v[28:29], -v[8:9]
	;; [unrolled: 1-line block ×3, first 2 shown]
	v_add_f64 v[8:9], v[8:9], v[36:37]
	v_fma_f64 v[56:57], v[14:15], s[36:37], -v[12:13]
	v_fma_f64 v[12:13], v[22:23], s[30:31], -v[44:45]
	v_add_f64 v[26:27], v[34:35], -v[26:27]
	v_add_f64 v[54:55], v[8:9], v[28:29]
	v_add_f64 v[24:25], v[12:13], v[32:33]
	v_fma_f64 v[12:13], v[26:27], s[30:31], -v[38:39]
	v_add_f64 v[28:29], v[36:37], -v[28:29]
	v_mul_f64 v[48:49], v[48:49], s[28:29]
	v_add_f64 v[34:35], v[12:13], v[30:31]
	v_mul_f64 v[12:13], v[28:29], s[6:7]
	v_fma_f64 v[22:23], v[22:23], s[22:23], -v[64:65]
	v_fma_f64 v[42:43], s[40:41], v[14:15], v[18:19]
	v_fma_f64 v[52:53], s[40:41], v[40:41], v[48:49]
	v_fma_f64 v[36:37], v[40:41], s[36:37], -v[12:13]
	v_add_f64 v[22:23], v[22:23], v[32:33]
	v_fma_f64 v[32:33], v[16:17], s[6:7], -v[18:19]
	v_fma_f64 v[16:17], v[26:27], s[22:23], -v[46:47]
	;; [unrolled: 1-line block ×3, first 2 shown]
	v_fmac_f64_e32 v[42:43], s[34:35], v[20:21]
	v_fmac_f64_e32 v[52:53], s[34:35], v[54:55]
	;; [unrolled: 1-line block ×5, first 2 shown]
	v_add_f64 v[20:21], v[16:17], v[30:31]
	v_fmac_f64_e32 v[26:27], s[34:35], v[54:55]
	v_add_f64 v[10:11], v[42:43], v[66:67]
	v_add_f64 v[8:9], v[50:51], -v[52:53]
	v_add_f64 v[14:15], v[56:57], v[24:25]
	v_add_f64 v[12:13], v[34:35], -v[36:37]
	v_add_f64 v[18:19], v[22:23], -v[32:33]
	v_add_f64 v[16:17], v[26:27], v[20:21]
	v_add_f64 v[22:23], v[32:33], v[22:23]
	v_add_f64 v[20:21], v[20:21], -v[26:27]
	v_add_f64 v[26:27], v[24:25], -v[56:57]
	v_add_f64 v[24:25], v[36:37], v[34:35]
	v_add_f64 v[30:31], v[66:67], -v[42:43]
	v_add_f64 v[28:29], v[52:53], v[50:51]
	ds_write_b128 v2, v[4:7] offset:28224
	ds_write_b128 v2, v[28:31] offset:28368
	;; [unrolled: 1-line block ×7, first 2 shown]
.LBB0_16:
	s_or_b64 exec, exec, s[42:43]
	v_mul_lo_u16_e32 v56, 37, v62
	v_lshrrev_b16_e32 v52, 8, v56
	v_mul_lo_u16_e32 v2, 37, v1
	v_mul_lo_u16_e32 v0, 7, v52
	v_lshrrev_b16_e32 v54, 8, v2
	v_sub_u16_e32 v0, v62, v0
	v_mul_lo_u16_e32 v4, 7, v54
	v_and_b32_e32 v53, 0xff, v0
	v_sub_u16_e32 v4, v1, v4
	v_lshlrev_b32_e32 v0, 4, v53
	v_and_b32_e32 v55, 0xff, v4
	s_waitcnt lgkmcnt(0)
	s_barrier
	v_lshlrev_b32_e32 v12, 4, v55
	global_load_dwordx4 v[4:7], v0, s[4:5]
	global_load_dwordx4 v[8:11], v12, s[4:5]
	s_movk_i32 s6, 0x93
	v_mov_b32_e32 v0, 0x2028
	v_mad_legacy_u16 v0, v62, s6, v0
	v_lshrrev_b16_e32 v57, 10, v0
	v_add_u16_e32 v0, 56, v62
	v_mul_lo_u16_e32 v12, 7, v57
	v_sub_u16_e32 v0, v0, v12
	v_mov_b32_e32 v12, 0x303c
	v_mad_legacy_u16 v12, v62, s6, v12
	v_lshrrev_b16_e32 v63, 10, v12
	v_and_b32_e32 v59, 0xff, v0
	v_mul_lo_u16_e32 v12, 7, v63
	v_lshlrev_b32_e32 v0, 4, v59
	v_sub_u16_e32 v16, v62, v12
	global_load_dwordx4 v[12:15], v0, s[4:5]
	v_add_u16_e32 v0, 0x54, v16
	v_and_b32_e32 v64, 0xff, v0
	v_lshlrev_b32_e32 v0, 4, v64
	global_load_dwordx4 v[16:19], v0, s[4:5]
	v_mul_i32_i24_e32 v0, 0xfffffca0, v62
	v_lshlrev_b32_e32 v70, 4, v58
	v_add3_u32 v0, v3, v0, v70
	ds_read_b128 v[20:23], v0
	ds_read_b128 v[24:27], v0 offset:4032
	ds_read_b128 v[28:31], v0 offset:16128
	;; [unrolled: 1-line block ×5, first 2 shown]
	v_add_u32_e32 v3, 0x2800, v0
	ds_read_b128 v[44:47], v0 offset:28224
	ds_read2_b64 v[48:51], v3 offset0:232 offset1:233
	v_mad_u32_u24 v3, v52, 14, v53
	v_mad_u32_u24 v52, v54, 14, v55
	v_mul_u32_u24_e32 v52, 0x90, v52
	v_add3_u32 v65, 0, v52, v70
	v_mul_u32_u24_e32 v3, 0x90, v3
	v_add3_u32 v3, 0, v3, v70
	s_waitcnt lgkmcnt(0)
	s_barrier
	v_cmp_gt_u64_e32 vcc, s[20:21], v[60:61]
	s_or_b64 s[2:3], s[2:3], vcc
	s_waitcnt vmcnt(3)
	v_mul_f64 v[52:53], v[30:31], v[6:7]
	v_mul_f64 v[6:7], v[28:29], v[6:7]
	s_waitcnt vmcnt(2)
	v_mul_f64 v[54:55], v[38:39], v[10:11]
	v_mul_f64 v[10:11], v[36:37], v[10:11]
	v_fma_f64 v[28:29], v[28:29], v[4:5], -v[52:53]
	v_fmac_f64_e32 v[6:7], v[30:31], v[4:5]
	v_fma_f64 v[30:31], v[36:37], v[8:9], -v[54:55]
	v_fmac_f64_e32 v[10:11], v[38:39], v[8:9]
	v_add_f64 v[6:7], v[22:23], -v[6:7]
	v_add_f64 v[8:9], v[24:25], -v[30:31]
	;; [unrolled: 1-line block ×3, first 2 shown]
	s_waitcnt vmcnt(1)
	v_mul_f64 v[4:5], v[42:43], v[14:15]
	v_mul_f64 v[36:37], v[40:41], v[14:15]
	v_fma_f64 v[38:39], v[40:41], v[12:13], -v[4:5]
	v_fmac_f64_e32 v[36:37], v[42:43], v[12:13]
	s_waitcnt vmcnt(0)
	v_mul_f64 v[12:13], v[46:47], v[18:19]
	v_add_f64 v[4:5], v[20:21], -v[28:29]
	v_mul_f64 v[40:41], v[44:45], v[18:19]
	v_fma_f64 v[28:29], v[44:45], v[16:17], -v[12:13]
	v_fma_f64 v[12:13], v[20:21], 2.0, -v[4:5]
	v_fma_f64 v[14:15], v[22:23], 2.0, -v[6:7]
	v_fmac_f64_e32 v[40:41], v[46:47], v[16:17]
	v_fma_f64 v[16:17], v[24:25], 2.0, -v[8:9]
	v_fma_f64 v[18:19], v[26:27], 2.0, -v[10:11]
	ds_write_b128 v3, v[4:7] offset:1008
	ds_write_b128 v3, v[12:15]
	ds_write_b128 v65, v[16:19]
	v_mad_u32_u24 v3, v57, 14, v59
	v_add_f64 v[20:21], v[32:33], -v[38:39]
	v_add_f64 v[22:23], v[34:35], -v[36:37]
	v_mul_u32_u24_e32 v3, 0x90, v3
	v_fma_f64 v[4:5], v[32:33], 2.0, -v[20:21]
	v_fma_f64 v[6:7], v[34:35], 2.0, -v[22:23]
	v_add3_u32 v3, 0, v3, v70
	ds_write_b128 v65, v[8:11] offset:1008
	ds_write_b128 v3, v[4:7]
	ds_write_b128 v3, v[20:23] offset:1008
	v_mad_u32_u24 v3, v63, 14, v64
	v_add_f64 v[24:25], v[48:49], -v[28:29]
	v_add_f64 v[26:27], v[50:51], -v[40:41]
	v_mul_u32_u24_e32 v3, 0x90, v3
	v_fma_f64 v[12:13], v[48:49], 2.0, -v[24:25]
	v_fma_f64 v[14:15], v[50:51], 2.0, -v[26:27]
	v_add3_u32 v3, 0, v3, v70
	ds_write_b128 v3, v[12:15]
	ds_write_b128 v3, v[24:27] offset:1008
	v_lshrrev_b16_e32 v3, 9, v56
	v_mul_lo_u16_e32 v4, 14, v3
	v_sub_u16_e32 v4, v62, v4
	v_lshrrev_b16_e32 v63, 9, v2
	v_and_b32_e32 v59, 0xff, v4
	v_mul_lo_u16_e32 v13, 14, v63
	v_mul_u32_u24_e32 v4, 3, v59
	v_sub_u16_e32 v13, v1, v13
	v_lshlrev_b32_e32 v12, 4, v4
	v_and_b32_e32 v71, 0xff, v13
	s_waitcnt lgkmcnt(0)
	s_barrier
	global_load_dwordx4 v[4:7], v12, s[4:5] offset:128
	global_load_dwordx4 v[8:11], v12, s[4:5] offset:112
	v_mul_u32_u24_e32 v16, 3, v71
	global_load_dwordx4 v[12:15], v12, s[4:5] offset:144
	v_lshlrev_b32_e32 v28, 4, v16
	global_load_dwordx4 v[16:19], v28, s[4:5] offset:112
	global_load_dwordx4 v[20:23], v28, s[4:5] offset:128
	global_load_dwordx4 v[24:27], v28, s[4:5] offset:144
	ds_read_b128 v[28:31], v0
	ds_read_b128 v[32:35], v0 offset:4032
	ds_read_b128 v[36:39], v0 offset:8064
	;; [unrolled: 1-line block ×7, first 2 shown]
	v_mad_u32_u24 v3, v3, 56, v59
	v_mul_u32_u24_e32 v3, 0x90, v3
	v_add3_u32 v3, 0, v3, v70
	s_waitcnt lgkmcnt(0)
	s_barrier
	s_waitcnt vmcnt(5)
	v_mul_f64 v[68:69], v[46:47], v[6:7]
	s_waitcnt vmcnt(4)
	v_mul_f64 v[56:57], v[38:39], v[10:11]
	v_mul_f64 v[10:11], v[36:37], v[10:11]
	v_fma_f64 v[36:37], v[36:37], v[8:9], -v[56:57]
	v_fmac_f64_e32 v[10:11], v[38:39], v[8:9]
	v_mul_f64 v[6:7], v[44:45], v[6:7]
	s_waitcnt vmcnt(3)
	v_mul_f64 v[8:9], v[54:55], v[14:15]
	v_mul_f64 v[14:15], v[52:53], v[14:15]
	s_waitcnt vmcnt(2)
	v_mul_f64 v[38:39], v[42:43], v[18:19]
	v_fma_f64 v[44:45], v[44:45], v[4:5], -v[68:69]
	v_fmac_f64_e32 v[6:7], v[46:47], v[4:5]
	v_mul_f64 v[46:47], v[40:41], v[18:19]
	s_waitcnt vmcnt(1)
	v_mul_f64 v[4:5], v[50:51], v[22:23]
	v_mul_f64 v[18:19], v[48:49], v[22:23]
	s_waitcnt vmcnt(0)
	v_mul_f64 v[22:23], v[66:67], v[26:27]
	v_fma_f64 v[8:9], v[52:53], v[12:13], -v[8:9]
	v_fmac_f64_e32 v[14:15], v[54:55], v[12:13]
	v_mul_f64 v[12:13], v[64:65], v[26:27]
	v_fma_f64 v[26:27], v[40:41], v[16:17], -v[38:39]
	v_fmac_f64_e32 v[46:47], v[42:43], v[16:17]
	v_fma_f64 v[4:5], v[48:49], v[20:21], -v[4:5]
	v_fmac_f64_e32 v[18:19], v[50:51], v[20:21]
	;; [unrolled: 2-line block ×3, first 2 shown]
	v_add_f64 v[20:21], v[28:29], -v[44:45]
	v_add_f64 v[22:23], v[30:31], -v[6:7]
	;; [unrolled: 1-line block ×7, first 2 shown]
	v_fma_f64 v[16:17], v[28:29], 2.0, -v[20:21]
	v_fma_f64 v[18:19], v[30:31], 2.0, -v[22:23]
	;; [unrolled: 1-line block ×4, first 2 shown]
	v_add_f64 v[38:39], v[32:33], -v[4:5]
	v_add_f64 v[4:5], v[20:21], -v[8:9]
	;; [unrolled: 1-line block ×4, first 2 shown]
	v_add_f64 v[6:7], v[22:23], v[6:7]
	v_fma_f64 v[16:17], v[16:17], 2.0, -v[8:9]
	v_fma_f64 v[18:19], v[18:19], 2.0, -v[10:11]
	;; [unrolled: 1-line block ×8, first 2 shown]
	ds_write_b128 v3, v[16:19]
	ds_write_b128 v3, v[12:15] offset:2016
	ds_write_b128 v3, v[8:11] offset:4032
	;; [unrolled: 1-line block ×3, first 2 shown]
	v_mad_u32_u24 v3, v63, 56, v71
	v_add_f64 v[20:21], v[24:25], -v[20:21]
	v_add_f64 v[22:23], v[28:29], -v[22:23]
	v_mul_u32_u24_e32 v3, 0x90, v3
	v_fma_f64 v[24:25], v[24:25], 2.0, -v[20:21]
	v_fma_f64 v[26:27], v[28:29], 2.0, -v[22:23]
	v_add_f64 v[28:29], v[38:39], -v[44:45]
	v_add_f64 v[30:31], v[40:41], v[42:43]
	v_add3_u32 v3, 0, v3, v70
	v_fma_f64 v[32:33], v[38:39], 2.0, -v[28:29]
	v_fma_f64 v[34:35], v[40:41], 2.0, -v[30:31]
	ds_write_b128 v3, v[24:27]
	ds_write_b128 v3, v[32:35] offset:2016
	ds_write_b128 v3, v[20:23] offset:4032
	;; [unrolled: 1-line block ×3, first 2 shown]
	s_waitcnt lgkmcnt(0)
	s_barrier
	s_and_saveexec_b64 s[6:7], s[2:3]
	s_cbranch_execz .LBB0_18
; %bb.17:
	s_load_dwordx2 s[2:3], s[0:1], 0x8
	v_and_b32_e32 v7, 0xffff, v62
	v_lshrrev_b16_e32 v2, 11, v2
	v_add_u32_e32 v6, 0xa8, v7
	v_mul_lo_u16_e32 v5, 56, v2
	v_mov_b32_e32 v3, 4
	v_mul_lo_u32 v8, v60, v6
	v_mov_b32_e32 v4, 0x1000
	v_lshlrev_b32_sdwa v9, v3, v8 dst_sel:DWORD dst_unused:UNUSED_PAD src0_sel:DWORD src1_sel:BYTE_0
	v_bfe_u32 v10, v8, 8, 8
	v_sub_u16_e32 v5, v1, v5
	v_lshl_or_b32 v10, v10, 4, v4
	s_waitcnt lgkmcnt(0)
	global_load_dwordx4 v[12:15], v9, s[2:3]
	global_load_dwordx4 v[16:19], v10, s[2:3]
	v_and_b32_e32 v5, 0xff, v5
	v_mul_u32_u24_e32 v9, 3, v5
	v_lshlrev_b32_e32 v9, 4, v9
	global_load_dwordx4 v[20:23], v9, s[4:5] offset:800
	global_load_dwordx4 v[24:27], v9, s[4:5] offset:784
	;; [unrolled: 1-line block ×3, first 2 shown]
	v_add_u32_e32 v110, 0x70, v7
	v_mul_lo_u32 v61, v60, v110
	ds_read_b128 v[32:35], v0 offset:20160
	ds_read_b128 v[36:39], v0 offset:16128
	;; [unrolled: 1-line block ×4, first 2 shown]
	v_mov_b32_e32 v59, 0x2000
	ds_read_b128 v[48:51], v0 offset:12096
	ds_read_b128 v[52:55], v0
	v_bfe_u32 v8, v8, 16, 8
	v_bfe_u32 v9, v61, 16, 8
	v_mul_lo_u32 v88, v60, v5
	v_add_u32_e32 v10, 0xa8, v5
	v_lshl_or_b32 v56, v8, 4, v59
	v_lshl_or_b32 v57, v9, 4, v59
	v_bfe_u32 v66, v88, 8, 8
	v_mul_lo_u32 v76, v60, v10
	global_load_dwordx4 v[8:11], v56, s[2:3]
	global_load_dwordx4 v[62:65], v57, s[2:3]
	v_lshlrev_b32_sdwa v72, v3, v88 dst_sel:DWORD dst_unused:UNUSED_PAD src0_sel:DWORD src1_sel:BYTE_0
	v_lshl_or_b32 v73, v66, 4, v4
	v_bfe_u32 v74, v76, 8, 8
	v_lshlrev_b32_sdwa v77, v3, v76 dst_sel:DWORD dst_unused:UNUSED_PAD src0_sel:DWORD src1_sel:BYTE_0
	v_add_u32_e32 v111, 56, v7
	s_load_dwordx2 s[0:1], s[0:1], 0x60
	s_mul_i32 s6, s10, s19
	s_mul_hi_u32 s7, s10, s17
	s_add_i32 s6, s7, s6
	s_mul_i32 s7, s11, s17
	s_add_i32 s7, s6, s7
	s_mul_i32 s6, s10, s17
	s_waitcnt vmcnt(5)
	v_mul_f64 v[56:57], v[14:15], v[18:19]
	v_mul_f64 v[66:67], v[12:13], v[18:19]
	v_fma_f64 v[56:57], v[12:13], v[16:17], -v[56:57]
	s_waitcnt vmcnt(4) lgkmcnt(0)
	v_mul_f64 v[68:69], v[32:33], v[22:23]
	v_mul_f64 v[12:13], v[34:35], v[22:23]
	v_fmac_f64_e32 v[66:67], v[14:15], v[16:17]
	v_fmac_f64_e32 v[68:69], v[34:35], v[20:21]
	v_fma_f64 v[70:71], v[32:33], v[20:21], -v[12:13]
	global_load_dwordx4 v[12:15], v72, s[2:3]
	global_load_dwordx4 v[16:19], v73, s[2:3]
	s_waitcnt vmcnt(5)
	v_mul_f64 v[20:21], v[50:51], v[26:27]
	v_mul_f64 v[72:73], v[48:49], v[26:27]
	v_lshl_or_b32 v22, v74, 4, v4
	v_fma_f64 v[48:49], v[48:49], v[24:25], -v[20:21]
	v_fmac_f64_e32 v[72:73], v[50:51], v[24:25]
	s_waitcnt vmcnt(4)
	v_mul_f64 v[24:25], v[42:43], v[30:31]
	global_load_dwordx4 v[20:23], v22, s[2:3]
	v_fma_f64 v[74:75], v[40:41], v[28:29], -v[24:25]
	global_load_dwordx4 v[24:27], v77, s[2:3]
	v_mul_f64 v[50:51], v[40:41], v[30:31]
	v_fmac_f64_e32 v[50:51], v[42:43], v[28:29]
	v_add_u32_e32 v28, 0x70, v5
	v_mul_lo_u32 v30, v60, v28
	v_bfe_u32 v28, v76, 16, 8
	v_bfe_u32 v29, v30, 16, 8
	v_lshl_or_b32 v31, v28, 4, v59
	v_lshl_or_b32 v32, v29, 4, v59
	v_add_u32_e32 v5, 56, v5
	v_mul_lo_u32 v5, v60, v5
	v_lshlrev_b32_sdwa v40, v3, v5 dst_sel:DWORD dst_unused:UNUSED_PAD src0_sel:DWORD src1_sel:BYTE_0
	s_waitcnt vmcnt(2)
	v_mul_f64 v[28:29], v[14:15], v[18:19]
	v_fma_f64 v[78:79], v[12:13], v[16:17], -v[28:29]
	v_mul_f64 v[76:77], v[12:13], v[18:19]
	v_fmac_f64_e32 v[76:77], v[14:15], v[16:17]
	global_load_dwordx4 v[12:15], v31, s[2:3]
	global_load_dwordx4 v[16:19], v32, s[2:3]
	s_waitcnt vmcnt(2)
	v_mul_f64 v[28:29], v[26:27], v[22:23]
	v_mul_f64 v[82:83], v[24:25], v[22:23]
	v_fma_f64 v[80:81], v[24:25], v[20:21], -v[28:29]
	v_fmac_f64_e32 v[82:83], v[26:27], v[20:21]
	v_lshlrev_b32_sdwa v28, v3, v30 dst_sel:DWORD dst_unused:UNUSED_PAD src0_sel:DWORD src1_sel:BYTE_0
	v_bfe_u32 v20, v30, 8, 8
	v_lshl_or_b32 v29, v20, 4, v4
	global_load_dwordx4 v[20:23], v28, s[2:3]
	global_load_dwordx4 v[24:27], v29, s[2:3]
	s_waitcnt vmcnt(0)
	v_mul_f64 v[28:29], v[22:23], v[26:27]
	v_fma_f64 v[84:85], v[20:21], v[24:25], -v[28:29]
	v_mul_f64 v[86:87], v[20:21], v[26:27]
	v_bfe_u32 v20, v5, 8, 8
	v_lshl_or_b32 v41, v20, 4, v4
	v_bfe_u32 v5, v5, 16, 8
	v_bfe_u32 v20, v88, 16, 8
	v_fmac_f64_e32 v[86:87], v[22:23], v[24:25]
	v_lshl_or_b32 v5, v5, 4, v59
	v_lshl_or_b32 v42, v20, 4, v59
	global_load_dwordx4 v[20:23], v41, s[2:3]
	global_load_dwordx4 v[24:27], v40, s[2:3]
	;; [unrolled: 1-line block ×4, first 2 shown]
	v_mul_u32_u24_e32 v5, 3, v7
	v_lshlrev_b32_e32 v5, 4, v5
	s_waitcnt vmcnt(2)
	v_mul_f64 v[40:41], v[26:27], v[22:23]
	v_mul_f64 v[90:91], v[24:25], v[22:23]
	v_fma_f64 v[88:89], v[24:25], v[20:21], -v[40:41]
	v_fmac_f64_e32 v[90:91], v[26:27], v[20:21]
	global_load_dwordx4 v[20:23], v5, s[4:5] offset:800
	global_load_dwordx4 v[24:27], v5, s[4:5] offset:784
	s_waitcnt vmcnt(1)
	v_mul_f64 v[92:93], v[36:37], v[22:23]
	v_mul_f64 v[22:23], v[38:39], v[22:23]
	v_fmac_f64_e32 v[92:93], v[38:39], v[20:21]
	v_fma_f64 v[94:95], v[36:37], v[20:21], -v[22:23]
	v_add_u32_e32 v20, 0x1f80, v0
	v_add_u32_e32 v0, 0xfc0, v0
	ds_read_b128 v[20:23], v20
	ds_read_b128 v[36:39], v0
	v_lshlrev_b32_sdwa v0, v3, v61 dst_sel:DWORD dst_unused:UNUSED_PAD src0_sel:DWORD src1_sel:BYTE_0
	s_waitcnt vmcnt(0) lgkmcnt(1)
	v_mul_f64 v[40:41], v[22:23], v[26:27]
	v_mul_f64 v[98:99], v[20:21], v[26:27]
	v_fma_f64 v[96:97], v[20:21], v[24:25], -v[40:41]
	v_fmac_f64_e32 v[98:99], v[22:23], v[24:25]
	global_load_dwordx4 v[20:23], v5, s[4:5] offset:816
	v_bfe_u32 v5, v61, 8, 8
	v_lshl_or_b32 v5, v5, 4, v4
	s_mul_i32 s4, s13, s16
	s_mul_hi_u32 s5, s12, s16
	s_add_i32 s5, s5, s4
	s_mul_i32 s4, s12, s16
	s_waitcnt vmcnt(0)
	v_mul_f64 v[24:25], v[46:47], v[22:23]
	v_mul_f64 v[102:103], v[44:45], v[22:23]
	v_fma_f64 v[100:101], v[44:45], v[20:21], -v[24:25]
	v_fmac_f64_e32 v[102:103], v[46:47], v[20:21]
	global_load_dwordx4 v[20:23], v0, s[2:3]
	global_load_dwordx4 v[24:27], v5, s[2:3]
	v_mul_lo_u32 v0, v60, v111
	v_mul_lo_u32 v5, v60, v7
	s_waitcnt vmcnt(0)
	v_mul_f64 v[40:41], v[22:23], v[26:27]
	v_fma_f64 v[104:105], v[20:21], v[24:25], -v[40:41]
	v_mul_f64 v[106:107], v[20:21], v[26:27]
	v_bfe_u32 v20, v0, 16, 8
	v_lshl_or_b32 v60, v20, 4, v59
	v_bfe_u32 v20, v5, 16, 8
	v_lshl_or_b32 v59, v20, 4, v59
	;; [unrolled: 2-line block ×3, first 2 shown]
	v_fmac_f64_e32 v[106:107], v[22:23], v[24:25]
	v_lshlrev_b32_sdwa v0, v3, v0 dst_sel:DWORD dst_unused:UNUSED_PAD src0_sel:DWORD src1_sel:BYTE_0
	global_load_dwordx4 v[20:23], v61, s[2:3]
	global_load_dwordx4 v[24:27], v0, s[2:3]
	;; [unrolled: 1-line block ×4, first 2 shown]
	v_lshlrev_b32_sdwa v0, v3, v5 dst_sel:DWORD dst_unused:UNUSED_PAD src0_sel:DWORD src1_sel:BYTE_0
	v_bfe_u32 v3, v5, 8, 8
	v_lshl_or_b32 v3, v3, 4, v4
	v_add_f64 v[4:5], v[54:55], -v[92:93]
	v_fma_f64 v[54:55], v[54:55], 2.0, -v[4:5]
	s_waitcnt vmcnt(2)
	v_mul_f64 v[60:61], v[26:27], v[22:23]
	v_mul_f64 v[108:109], v[24:25], v[22:23]
	v_fma_f64 v[60:61], v[24:25], v[20:21], -v[60:61]
	v_fmac_f64_e32 v[108:109], v[26:27], v[20:21]
	v_mul_f64 v[20:21], v[82:83], v[14:15]
	v_mul_f64 v[14:15], v[80:81], v[14:15]
	v_fma_f64 v[20:21], v[12:13], v[80:81], -v[20:21]
	v_fmac_f64_e32 v[14:15], v[12:13], v[82:83]
	v_mul_f64 v[12:13], v[86:87], v[18:19]
	v_fma_f64 v[22:23], v[16:17], v[84:85], -v[12:13]
	v_mul_f64 v[18:19], v[84:85], v[18:19]
	v_mul_f64 v[12:13], v[90:91], v[30:31]
	;; [unrolled: 1-line block ×3, first 2 shown]
	v_fmac_f64_e32 v[18:19], v[16:17], v[86:87]
	v_fma_f64 v[16:17], v[28:29], v[88:89], -v[12:13]
	v_mul_f64 v[12:13], v[88:89], v[30:31]
	v_fma_f64 v[80:81], v[32:33], v[78:79], -v[24:25]
	v_mul_f64 v[24:25], v[78:79], v[34:35]
	v_mul_f64 v[26:27], v[66:67], v[10:11]
	v_fmac_f64_e32 v[12:13], v[28:29], v[90:91]
	v_fmac_f64_e32 v[24:25], v[32:33], v[76:77]
	v_fma_f64 v[76:77], v[8:9], v[56:57], -v[26:27]
	s_waitcnt lgkmcnt(0)
	v_add_f64 v[26:27], v[38:39], -v[68:69]
	v_add_f64 v[28:29], v[48:49], -v[74:75]
	;; [unrolled: 1-line block ×4, first 2 shown]
	v_mul_f64 v[32:33], v[56:57], v[10:11]
	v_add_f64 v[50:51], v[26:27], v[28:29]
	v_add_f64 v[56:57], v[30:31], -v[34:35]
	v_fmac_f64_e32 v[32:33], v[8:9], v[66:67]
	v_mul_f64 v[8:9], v[50:51], v[14:15]
	v_mul_f64 v[10:11], v[56:57], v[14:15]
	v_fma_f64 v[8:9], v[56:57], v[20:21], -v[8:9]
	v_fmac_f64_e32 v[10:11], v[50:51], v[20:21]
	v_fma_f64 v[20:21], v[38:39], 2.0, -v[26:27]
	v_fma_f64 v[36:37], v[36:37], 2.0, -v[30:31]
	;; [unrolled: 1-line block ×4, first 2 shown]
	v_mul_f64 v[38:39], v[26:27], v[12:13]
	v_mul_f64 v[14:15], v[30:31], v[12:13]
	v_fma_f64 v[12:13], v[30:31], v[16:17], -v[38:39]
	v_fmac_f64_e32 v[14:15], v[26:27], v[16:17]
	v_fma_f64 v[16:17], v[72:73], 2.0, -v[34:35]
	v_fma_f64 v[26:27], v[48:49], 2.0, -v[28:29]
	v_add_f64 v[28:29], v[20:21], -v[16:17]
	v_add_f64 v[26:27], v[36:37], -v[26:27]
	v_mul_f64 v[16:17], v[28:29], v[18:19]
	v_mul_f64 v[18:19], v[26:27], v[18:19]
	v_fma_f64 v[34:35], v[20:21], 2.0, -v[28:29]
	v_fma_f64 v[20:21], v[36:37], 2.0, -v[26:27]
	v_fma_f64 v[16:17], v[26:27], v[22:23], -v[16:17]
	v_fmac_f64_e32 v[18:19], v[28:29], v[22:23]
	v_mul_f64 v[22:23], v[20:21], v[24:25]
	v_mul_f64 v[24:25], v[34:35], v[24:25]
	v_fma_f64 v[20:21], v[20:21], v[80:81], -v[24:25]
	global_load_dwordx4 v[24:27], v0, s[2:3]
	global_load_dwordx4 v[28:31], v3, s[2:3]
	v_fmac_f64_e32 v[22:23], v[34:35], v[80:81]
	v_add_f64 v[36:37], v[96:97], -v[100:101]
	v_add_f64 v[50:51], v[52:53], -v[94:95]
	v_add_f64 v[38:39], v[98:99], -v[102:103]
	v_mul_f64 v[34:35], v[106:107], v[64:65]
	v_mul_f64 v[64:65], v[104:105], v[64:65]
	v_add_f64 v[48:49], v[4:5], v[36:37]
	v_fma_f64 v[56:57], v[62:63], v[104:105], -v[34:35]
	v_fmac_f64_e32 v[64:65], v[62:63], v[106:107]
	v_add_f64 v[62:63], v[50:51], -v[38:39]
	v_fma_f64 v[38:39], v[98:99], 2.0, -v[38:39]
	v_fma_f64 v[52:53], v[52:53], 2.0, -v[50:51]
	;; [unrolled: 1-line block ×3, first 2 shown]
	v_add_f64 v[66:67], v[54:55], -v[38:39]
	v_add_f64 v[68:69], v[52:53], -v[36:37]
	v_mul_f64 v[38:39], v[68:69], v[64:65]
	v_mul_f64 v[36:37], v[66:67], v[64:65]
	v_mul_f64 v[34:35], v[62:63], v[32:33]
	v_fmac_f64_e32 v[38:39], v[66:67], v[56:57]
	v_fma_f64 v[36:37], v[68:69], v[56:57], -v[36:37]
	s_waitcnt vmcnt(3)
	v_mul_f64 v[56:57], v[60:61], v[42:43]
	v_mul_f64 v[32:33], v[48:49], v[32:33]
	v_fmac_f64_e32 v[34:35], v[48:49], v[76:77]
	v_fma_f64 v[4:5], v[4:5], 2.0, -v[48:49]
	v_mul_f64 v[48:49], v[108:109], v[42:43]
	v_fma_f64 v[50:51], v[50:51], 2.0, -v[62:63]
	v_fmac_f64_e32 v[56:57], v[40:41], v[108:109]
	v_fma_f64 v[48:49], v[40:41], v[60:61], -v[48:49]
	v_mul_f64 v[42:43], v[50:51], v[56:57]
	v_fmac_f64_e32 v[42:43], v[4:5], v[48:49]
	v_mul_f64 v[4:5], v[4:5], v[56:57]
	v_fma_f64 v[40:41], v[50:51], v[48:49], -v[4:5]
	s_mul_i32 s2, s15, s18
	s_mul_hi_u32 s3, s14, s18
	s_add_i32 s3, s3, s2
	s_mul_i32 s2, s14, s18
	v_fma_f64 v[4:5], v[54:55], 2.0, -v[66:67]
	s_lshl_b64 s[2:3], s[2:3], 4
	s_add_u32 s2, s0, s2
	s_addc_u32 s3, s1, s3
	s_lshl_b64 s[0:1], s[4:5], 4
	s_add_u32 s2, s2, s0
	s_addc_u32 s3, s3, s1
	;; [unrolled: 3-line block ×3, first 2 shown]
	v_fma_f64 v[32:33], v[62:63], v[76:77], -v[32:33]
	s_movk_i32 s14, 0xa8
	s_waitcnt vmcnt(0)
	v_mul_f64 v[48:49], v[26:27], v[30:31]
	v_fma_f64 v[48:49], v[24:25], v[28:29], -v[48:49]
	v_mul_f64 v[24:25], v[24:25], v[30:31]
	v_fmac_f64_e32 v[24:25], v[26:27], v[28:29]
	v_mul_f64 v[26:27], v[24:25], v[46:47]
	v_mul_f64 v[46:47], v[48:49], v[46:47]
	v_fma_f64 v[30:31], v[52:53], 2.0, -v[68:69]
	v_fmac_f64_e32 v[46:47], v[44:45], v[24:25]
	v_fma_f64 v[28:29], v[44:45], v[48:49], -v[26:27]
	v_mul_f64 v[26:27], v[30:31], v[46:47]
	v_fmac_f64_e32 v[26:27], v[4:5], v[28:29]
	v_mul_f64 v[4:5], v[4:5], v[46:47]
	v_fma_f64 v[24:25], v[30:31], v[28:29], -v[4:5]
	v_mad_u64_u32 v[4:5], s[12:13], s10, v58, 0
	v_mov_b32_e32 v0, v5
	v_mad_u64_u32 v[28:29], s[10:11], s11, v58, v[0:1]
	v_mov_b32_e32 v5, v28
	v_mad_u64_u32 v[28:29], s[10:11], s8, v7, 0
	v_mov_b32_e32 v0, v29
	v_mad_u64_u32 v[30:31], s[10:11], s9, v7, v[0:1]
	v_mov_b32_e32 v29, v30
	v_lshl_add_u64 v[4:5], v[4:5], 4, s[0:1]
	v_lshl_add_u64 v[28:29], v[28:29], 4, v[4:5]
	global_store_dwordx4 v[28:29], v[24:27], off
	s_nop 1
	v_mad_u64_u32 v[24:25], s[0:1], s8, v111, 0
	v_mov_b32_e32 v0, v25
	v_mad_u64_u32 v[26:27], s[0:1], s9, v111, v[0:1]
	v_mov_b32_e32 v25, v26
	v_lshl_add_u64 v[24:25], v[24:25], 4, v[4:5]
	global_store_dwordx4 v[24:25], v[40:43], off
	v_mad_u64_u32 v[24:25], s[0:1], s8, v110, 0
	v_mov_b32_e32 v0, v25
	v_mad_u64_u32 v[26:27], s[0:1], s9, v110, v[0:1]
	v_mov_b32_e32 v25, v26
	v_lshl_add_u64 v[24:25], v[24:25], 4, v[4:5]
	global_store_dwordx4 v[24:25], v[36:39], off
	;; [unrolled: 6-line block ×3, first 2 shown]
	v_mad_u32_u24 v6, v2, s14, v1
	v_mad_u64_u32 v[0:1], s[0:1], s8, v6, 0
	v_mov_b32_e32 v2, v1
	v_mad_u64_u32 v[2:3], s[0:1], s9, v6, v[2:3]
	v_mov_b32_e32 v1, v2
	v_lshl_add_u64 v[0:1], v[0:1], 4, v[4:5]
	v_add_u32_e32 v3, 56, v6
	global_store_dwordx4 v[0:1], v[20:23], off
	v_mad_u64_u32 v[0:1], s[0:1], s8, v3, 0
	v_mov_b32_e32 v2, v1
	v_mad_u64_u32 v[2:3], s[0:1], s9, v3, v[2:3]
	v_mov_b32_e32 v1, v2
	v_lshl_add_u64 v[0:1], v[0:1], 4, v[4:5]
	v_add_u32_e32 v3, 0x70, v6
	global_store_dwordx4 v[0:1], v[12:15], off
	;; [unrolled: 7-line block ×3, first 2 shown]
	v_mad_u64_u32 v[0:1], s[0:1], s8, v3, 0
	v_mov_b32_e32 v2, v1
	v_mad_u64_u32 v[2:3], s[0:1], s9, v3, v[2:3]
	v_mov_b32_e32 v1, v2
	v_lshl_add_u64 v[0:1], v[0:1], 4, v[4:5]
	global_store_dwordx4 v[0:1], v[8:11], off
.LBB0_18:
	s_endpgm
	.section	.rodata,"a",@progbits
	.p2align	6, 0x0
	.amdhsa_kernel fft_rtc_fwd_len224_factors_7_2_4_4_wgs_252_tpt_28_dim3_dp_op_CI_CI_sbcc_twdbase8_3step_dirReg
		.amdhsa_group_segment_fixed_size 0
		.amdhsa_private_segment_fixed_size 0
		.amdhsa_kernarg_size 104
		.amdhsa_user_sgpr_count 2
		.amdhsa_user_sgpr_dispatch_ptr 0
		.amdhsa_user_sgpr_queue_ptr 0
		.amdhsa_user_sgpr_kernarg_segment_ptr 1
		.amdhsa_user_sgpr_dispatch_id 0
		.amdhsa_user_sgpr_kernarg_preload_length 0
		.amdhsa_user_sgpr_kernarg_preload_offset 0
		.amdhsa_user_sgpr_private_segment_size 0
		.amdhsa_uses_dynamic_stack 0
		.amdhsa_enable_private_segment 0
		.amdhsa_system_sgpr_workgroup_id_x 1
		.amdhsa_system_sgpr_workgroup_id_y 0
		.amdhsa_system_sgpr_workgroup_id_z 0
		.amdhsa_system_sgpr_workgroup_info 0
		.amdhsa_system_vgpr_workitem_id 0
		.amdhsa_next_free_vgpr 112
		.amdhsa_next_free_sgpr 44
		.amdhsa_accum_offset 112
		.amdhsa_reserve_vcc 1
		.amdhsa_float_round_mode_32 0
		.amdhsa_float_round_mode_16_64 0
		.amdhsa_float_denorm_mode_32 3
		.amdhsa_float_denorm_mode_16_64 3
		.amdhsa_dx10_clamp 1
		.amdhsa_ieee_mode 1
		.amdhsa_fp16_overflow 0
		.amdhsa_tg_split 0
		.amdhsa_exception_fp_ieee_invalid_op 0
		.amdhsa_exception_fp_denorm_src 0
		.amdhsa_exception_fp_ieee_div_zero 0
		.amdhsa_exception_fp_ieee_overflow 0
		.amdhsa_exception_fp_ieee_underflow 0
		.amdhsa_exception_fp_ieee_inexact 0
		.amdhsa_exception_int_div_zero 0
	.end_amdhsa_kernel
	.text
.Lfunc_end0:
	.size	fft_rtc_fwd_len224_factors_7_2_4_4_wgs_252_tpt_28_dim3_dp_op_CI_CI_sbcc_twdbase8_3step_dirReg, .Lfunc_end0-fft_rtc_fwd_len224_factors_7_2_4_4_wgs_252_tpt_28_dim3_dp_op_CI_CI_sbcc_twdbase8_3step_dirReg
                                        ; -- End function
	.section	.AMDGPU.csdata,"",@progbits
; Kernel info:
; codeLenInByte = 7580
; NumSgprs: 50
; NumVgprs: 112
; NumAgprs: 0
; TotalNumVgprs: 112
; ScratchSize: 0
; MemoryBound: 1
; FloatMode: 240
; IeeeMode: 1
; LDSByteSize: 0 bytes/workgroup (compile time only)
; SGPRBlocks: 6
; VGPRBlocks: 13
; NumSGPRsForWavesPerEU: 50
; NumVGPRsForWavesPerEU: 112
; AccumOffset: 112
; Occupancy: 4
; WaveLimiterHint : 1
; COMPUTE_PGM_RSRC2:SCRATCH_EN: 0
; COMPUTE_PGM_RSRC2:USER_SGPR: 2
; COMPUTE_PGM_RSRC2:TRAP_HANDLER: 0
; COMPUTE_PGM_RSRC2:TGID_X_EN: 1
; COMPUTE_PGM_RSRC2:TGID_Y_EN: 0
; COMPUTE_PGM_RSRC2:TGID_Z_EN: 0
; COMPUTE_PGM_RSRC2:TIDIG_COMP_CNT: 0
; COMPUTE_PGM_RSRC3_GFX90A:ACCUM_OFFSET: 27
; COMPUTE_PGM_RSRC3_GFX90A:TG_SPLIT: 0
	.text
	.p2alignl 6, 3212836864
	.fill 256, 4, 3212836864
	.type	__hip_cuid_7c841452d626eae5,@object ; @__hip_cuid_7c841452d626eae5
	.section	.bss,"aw",@nobits
	.globl	__hip_cuid_7c841452d626eae5
__hip_cuid_7c841452d626eae5:
	.byte	0                               ; 0x0
	.size	__hip_cuid_7c841452d626eae5, 1

	.ident	"AMD clang version 19.0.0git (https://github.com/RadeonOpenCompute/llvm-project roc-6.4.0 25133 c7fe45cf4b819c5991fe208aaa96edf142730f1d)"
	.section	".note.GNU-stack","",@progbits
	.addrsig
	.addrsig_sym __hip_cuid_7c841452d626eae5
	.amdgpu_metadata
---
amdhsa.kernels:
  - .agpr_count:     0
    .args:
      - .actual_access:  read_only
        .address_space:  global
        .offset:         0
        .size:           8
        .value_kind:     global_buffer
      - .address_space:  global
        .offset:         8
        .size:           8
        .value_kind:     global_buffer
      - .actual_access:  read_only
        .address_space:  global
        .offset:         16
        .size:           8
        .value_kind:     global_buffer
      - .actual_access:  read_only
        .address_space:  global
        .offset:         24
        .size:           8
        .value_kind:     global_buffer
      - .actual_access:  read_only
        .address_space:  global
        .offset:         32
        .size:           8
        .value_kind:     global_buffer
      - .offset:         40
        .size:           8
        .value_kind:     by_value
      - .actual_access:  read_only
        .address_space:  global
        .offset:         48
        .size:           8
        .value_kind:     global_buffer
      - .actual_access:  read_only
        .address_space:  global
        .offset:         56
        .size:           8
        .value_kind:     global_buffer
      - .offset:         64
        .size:           4
        .value_kind:     by_value
      - .actual_access:  read_only
        .address_space:  global
        .offset:         72
        .size:           8
        .value_kind:     global_buffer
      - .actual_access:  read_only
        .address_space:  global
        .offset:         80
        .size:           8
        .value_kind:     global_buffer
      - .actual_access:  read_only
        .address_space:  global
        .offset:         88
        .size:           8
        .value_kind:     global_buffer
      - .actual_access:  write_only
        .address_space:  global
        .offset:         96
        .size:           8
        .value_kind:     global_buffer
    .group_segment_fixed_size: 0
    .kernarg_segment_align: 8
    .kernarg_segment_size: 104
    .language:       OpenCL C
    .language_version:
      - 2
      - 0
    .max_flat_workgroup_size: 252
    .name:           fft_rtc_fwd_len224_factors_7_2_4_4_wgs_252_tpt_28_dim3_dp_op_CI_CI_sbcc_twdbase8_3step_dirReg
    .private_segment_fixed_size: 0
    .sgpr_count:     50
    .sgpr_spill_count: 0
    .symbol:         fft_rtc_fwd_len224_factors_7_2_4_4_wgs_252_tpt_28_dim3_dp_op_CI_CI_sbcc_twdbase8_3step_dirReg.kd
    .uniform_work_group_size: 1
    .uses_dynamic_stack: false
    .vgpr_count:     112
    .vgpr_spill_count: 0
    .wavefront_size: 64
amdhsa.target:   amdgcn-amd-amdhsa--gfx950
amdhsa.version:
  - 1
  - 2
...

	.end_amdgpu_metadata
